;; amdgpu-corpus repo=ROCm/rocFFT kind=compiled arch=gfx906 opt=O3
	.text
	.amdgcn_target "amdgcn-amd-amdhsa--gfx906"
	.amdhsa_code_object_version 6
	.protected	fft_rtc_back_len112_factors_7_2_8_wgs_64_tpt_8_dim3_dp_op_CI_CI_sbrc_aligned_dirReg ; -- Begin function fft_rtc_back_len112_factors_7_2_8_wgs_64_tpt_8_dim3_dp_op_CI_CI_sbrc_aligned_dirReg
	.globl	fft_rtc_back_len112_factors_7_2_8_wgs_64_tpt_8_dim3_dp_op_CI_CI_sbrc_aligned_dirReg
	.p2align	8
	.type	fft_rtc_back_len112_factors_7_2_8_wgs_64_tpt_8_dim3_dp_op_CI_CI_sbrc_aligned_dirReg,@function
fft_rtc_back_len112_factors_7_2_8_wgs_64_tpt_8_dim3_dp_op_CI_CI_sbrc_aligned_dirReg: ; @fft_rtc_back_len112_factors_7_2_8_wgs_64_tpt_8_dim3_dp_op_CI_CI_sbrc_aligned_dirReg
; %bb.0:
	s_load_dwordx8 s[8:15], s[4:5], 0x0
	s_load_dwordx4 s[16:19], s[4:5], 0x50
	s_waitcnt lgkmcnt(0)
	s_load_dwordx4 s[20:23], s[10:11], 0x8
	s_waitcnt lgkmcnt(0)
	s_mov_b32 s21, 0
	s_add_i32 s0, s20, -1
	s_lshr_b32 s7, s0, 3
	s_add_i32 s7, s7, 1
	v_cvt_f32_u32_e32 v1, s7
	s_sub_i32 s0, 0, s7
	v_rcp_iflag_f32_e32 v1, v1
	v_mul_f32_e32 v1, 0x4f7ffffe, v1
	v_cvt_u32_f32_e32 v3, v1
	v_mov_b32_e32 v1, s22
	v_mov_b32_e32 v2, s23
	v_readfirstlane_b32 s1, v3
	s_mul_i32 s0, s0, s1
	s_mul_hi_u32 s0, s1, s0
	s_add_i32 s1, s1, s0
	s_mul_hi_u32 s0, s6, s1
	s_mul_i32 s1, s0, s7
	s_sub_i32 s1, s6, s1
	s_add_i32 s2, s0, 1
	s_sub_i32 s3, s1, s7
	s_cmp_ge_u32 s1, s7
	s_cselect_b32 s0, s2, s0
	s_cselect_b32 s1, s3, s1
	s_add_i32 s2, s0, 1
	s_cmp_ge_u32 s1, s7
	s_cselect_b32 s20, s2, s0
	s_load_dwordx4 s[0:3], s[12:13], 0x0
	v_cmp_lt_u64_e32 vcc, s[20:21], v[1:2]
	s_mov_b64 s[10:11], s[20:21]
	s_cbranch_vccnz .LBB0_2
; %bb.1:
	v_cvt_f32_u32_e32 v1, s22
	s_waitcnt lgkmcnt(0)
	s_sub_i32 s3, 0, s22
	v_rcp_iflag_f32_e32 v1, v1
	v_mul_f32_e32 v1, 0x4f7ffffe, v1
	v_cvt_u32_f32_e32 v1, v1
	v_readfirstlane_b32 s4, v1
	s_mul_i32 s3, s3, s4
	s_mul_hi_u32 s3, s4, s3
	s_add_i32 s4, s4, s3
	s_mul_hi_u32 s3, s20, s4
	s_mul_i32 s3, s3, s22
	s_sub_i32 s3, s20, s3
	s_sub_i32 s4, s3, s22
	s_cmp_ge_u32 s3, s22
	s_cselect_b32 s3, s4, s3
	s_sub_i32 s4, s3, s22
	s_cmp_ge_u32 s3, s22
	s_cselect_b32 s10, s4, s3
.LBB0_2:
	s_mul_i32 s22, s7, s22
	v_cvt_f32_u32_e32 v1, s22
	s_load_dwordx4 s[24:27], s[12:13], 0x10
	s_waitcnt lgkmcnt(0)
	s_mul_i32 s3, s20, s7
	s_sub_i32 s3, s6, s3
	v_rcp_iflag_f32_e32 v1, v1
	s_lshl_b32 s11, s3, 3
	s_mul_i32 s3, s25, s10
	s_mul_hi_u32 s4, s24, s10
	v_mul_f32_e32 v1, 0x4f7ffffe, v1
	v_cvt_u32_f32_e32 v1, v1
	s_add_i32 s5, s4, s3
	s_sub_i32 s3, 0, s22
	s_mul_i32 s4, s24, s10
	v_readfirstlane_b32 s7, v1
	s_mul_i32 s3, s3, s7
	s_mul_hi_u32 s3, s7, s3
	s_add_i32 s7, s7, s3
	s_mul_hi_u32 s3, s6, s7
	s_mul_i32 s7, s3, s22
	s_sub_i32 s6, s6, s7
	s_add_i32 s7, s3, 1
	s_sub_i32 s12, s6, s22
	s_cmp_ge_u32 s6, s22
	s_cselect_b32 s3, s7, s3
	s_cselect_b32 s12, s12, s6
	v_mad_u64_u32 v[3:4], s[6:7], s0, v0, 0
	s_add_i32 s13, s3, 1
	s_cmp_ge_u32 s12, s22
	v_mov_b32_e32 v1, v4
	s_cselect_b32 s33, s13, s3
	v_mad_u64_u32 v[1:2], s[6:7], s1, v0, v[1:2]
	s_mul_i32 s3, s27, s33
	s_mul_hi_u32 s6, s26, s33
	s_add_i32 s7, s6, s3
	s_mul_i32 s6, s26, s33
	s_lshl_b64 s[6:7], s[6:7], 4
	s_add_u32 s3, s16, s6
	s_addc_u32 s6, s17, s7
	s_lshl_b64 s[4:5], s[4:5], 4
	s_add_u32 s3, s3, s4
	s_addc_u32 s4, s6, s5
	v_or_b32_e32 v2, 64, v0
	s_movk_i32 s5, 0x24a
	v_mov_b32_e32 v4, v1
	v_mul_u32_u24_sdwa v1, v2, s5 dst_sel:DWORD dst_unused:UNUSED_PAD src0_sel:WORD_0 src1_sel:DWORD
	v_lshrrev_b32_e32 v1, 16, v1
	v_mul_lo_u16_e32 v5, 0x70, v1
	v_sub_u16_e32 v2, v2, v5
	v_mad_u64_u32 v[5:6], s[12:13], s0, v2, 0
	s_mul_i32 s20, s11, s2
	s_lshl_b64 s[6:7], s[20:21], 4
	s_add_u32 s3, s3, s6
	s_addc_u32 s4, s4, s7
	v_mad_u64_u32 v[6:7], s[6:7], s1, v2, v[6:7]
	v_lshlrev_b64 v[3:4], 4, v[3:4]
	v_mov_b32_e32 v8, s4
	v_add_co_u32_e32 v13, vcc, s3, v3
	v_addc_co_u32_e32 v14, vcc, v8, v4, vcc
	v_lshlrev_b64 v[3:4], 4, v[5:6]
	v_mov_b32_e32 v5, s4
	v_add_co_u32_e32 v7, vcc, s3, v3
	v_addc_co_u32_e32 v8, vcc, v5, v4, vcc
	v_or_b32_e32 v4, 0x80, v0
	v_mul_u32_u24_sdwa v3, v4, s5 dst_sel:DWORD dst_unused:UNUSED_PAD src0_sel:WORD_0 src1_sel:DWORD
	v_lshrrev_b32_e32 v3, 16, v3
	v_mul_lo_u32 v65, s2, v1
	v_mul_lo_u16_e32 v9, 0x70, v3
	v_sub_u16_e32 v4, v4, v9
	v_mad_u64_u32 v[15:16], s[6:7], s0, v4, 0
	v_mov_b32_e32 v66, 0
	v_lshlrev_b64 v[5:6], 4, v[65:66]
	v_mul_lo_u32 v65, s2, v3
	v_add_co_u32_e32 v17, vcc, v7, v5
	v_mov_b32_e32 v5, v16
	v_mad_u64_u32 v[19:20], s[6:7], s1, v4, v[5:6]
	v_addc_co_u32_e32 v18, vcc, v8, v6, vcc
	v_mov_b32_e32 v16, v19
	global_load_dwordx4 v[5:8], v[13:14], off
	global_load_dwordx4 v[9:12], v[17:18], off
	v_lshlrev_b64 v[13:14], 4, v[15:16]
	v_or_b32_e32 v15, 0xc0, v0
	v_mul_u32_u24_sdwa v16, v15, s5 dst_sel:DWORD dst_unused:UNUSED_PAD src0_sel:WORD_0 src1_sel:DWORD
	v_lshrrev_b32_e32 v61, 16, v16
	v_mul_lo_u16_e32 v16, 0x70, v61
	v_sub_u16_e32 v62, v15, v16
	v_mad_u64_u32 v[15:16], s[6:7], s0, v62, 0
	v_mov_b32_e32 v17, s4
	v_add_co_u32_e32 v18, vcc, s3, v13
	v_addc_co_u32_e32 v19, vcc, v17, v14, vcc
	v_mad_u64_u32 v[16:17], s[6:7], s1, v62, v[16:17]
	v_lshlrev_b64 v[13:14], 4, v[65:66]
	v_mul_lo_u32 v65, s2, v61
	v_add_co_u32_e32 v21, vcc, v18, v13
	v_addc_co_u32_e32 v22, vcc, v19, v14, vcc
	v_lshlrev_b64 v[13:14], 4, v[15:16]
	v_or_b32_e32 v15, 0x100, v0
	v_mul_u32_u24_sdwa v16, v15, s5 dst_sel:DWORD dst_unused:UNUSED_PAD src0_sel:WORD_0 src1_sel:DWORD
	v_lshrrev_b32_e32 v63, 16, v16
	v_mul_lo_u16_e32 v16, 0x70, v63
	v_sub_u16_e32 v64, v15, v16
	v_mad_u64_u32 v[15:16], s[6:7], s0, v64, 0
	v_mov_b32_e32 v17, s4
	v_add_co_u32_e32 v18, vcc, s3, v13
	v_addc_co_u32_e32 v19, vcc, v17, v14, vcc
	v_mad_u64_u32 v[16:17], s[6:7], s1, v64, v[16:17]
	v_lshlrev_b64 v[13:14], 4, v[65:66]
	v_mul_lo_u32 v65, s2, v63
	v_add_co_u32_e32 v23, vcc, v18, v13
	v_addc_co_u32_e32 v24, vcc, v19, v14, vcc
	v_lshlrev_b64 v[13:14], 4, v[15:16]
	v_or_b32_e32 v16, 0x140, v0
	v_mul_u32_u24_sdwa v17, v16, s5 dst_sel:DWORD dst_unused:UNUSED_PAD src0_sel:WORD_0 src1_sel:DWORD
	v_lshrrev_b32_e32 v67, 16, v17
	v_mul_lo_u16_e32 v17, 0x70, v67
	v_sub_u16_e32 v68, v16, v17
	v_mad_u64_u32 v[25:26], s[6:7], s0, v68, 0
	v_mov_b32_e32 v15, s4
	v_add_co_u32_e32 v16, vcc, s3, v13
	v_addc_co_u32_e32 v17, vcc, v15, v14, vcc
	v_mov_b32_e32 v15, v26
	v_lshlrev_b64 v[13:14], 4, v[65:66]
	v_mad_u64_u32 v[26:27], s[6:7], s1, v68, v[15:16]
	v_add_co_u32_e32 v29, vcc, v16, v13
	v_addc_co_u32_e32 v30, vcc, v17, v14, vcc
	global_load_dwordx4 v[13:16], v[21:22], off
	global_load_dwordx4 v[17:20], v[23:24], off
	v_or_b32_e32 v24, 0x180, v0
	v_lshlrev_b64 v[21:22], 4, v[25:26]
	v_mul_u32_u24_sdwa v25, v24, s5 dst_sel:DWORD dst_unused:UNUSED_PAD src0_sel:WORD_0 src1_sel:DWORD
	v_lshrrev_b32_e32 v69, 16, v25
	v_mul_lo_u16_e32 v25, 0x70, v69
	v_sub_u16_e32 v70, v24, v25
	v_mad_u64_u32 v[31:32], s[6:7], s0, v70, 0
	v_mul_lo_u32 v65, s2, v67
	v_mov_b32_e32 v23, s4
	v_add_co_u32_e32 v24, vcc, s3, v21
	v_addc_co_u32_e32 v25, vcc, v23, v22, vcc
	v_mov_b32_e32 v23, v32
	v_mad_u64_u32 v[32:33], s[6:7], s1, v70, v[23:24]
	v_lshlrev_b64 v[21:22], 4, v[65:66]
	v_mul_lo_u32 v65, s2, v69
	v_add_co_u32_e32 v33, vcc, v24, v21
	v_addc_co_u32_e32 v34, vcc, v25, v22, vcc
	global_load_dwordx4 v[21:24], v[29:30], off
	global_load_dwordx4 v[25:28], v[33:34], off
	v_lshlrev_b64 v[29:30], 4, v[31:32]
	v_or_b32_e32 v31, 0x1c0, v0
	v_mul_u32_u24_sdwa v32, v31, s5 dst_sel:DWORD dst_unused:UNUSED_PAD src0_sel:WORD_0 src1_sel:DWORD
	v_lshrrev_b32_e32 v71, 16, v32
	v_mul_lo_u16_e32 v32, 0x70, v71
	v_sub_u16_e32 v72, v31, v32
	v_mad_u64_u32 v[31:32], s[6:7], s0, v72, 0
	v_mov_b32_e32 v33, s4
	v_add_co_u32_e32 v34, vcc, s3, v29
	v_addc_co_u32_e32 v35, vcc, v33, v30, vcc
	v_mad_u64_u32 v[32:33], s[6:7], s1, v72, v[32:33]
	v_lshlrev_b64 v[29:30], 4, v[65:66]
	s_movk_i32 s5, 0x493
	v_add_co_u32_e32 v37, vcc, v34, v29
	v_addc_co_u32_e32 v38, vcc, v35, v30, vcc
	v_lshlrev_b64 v[29:30], 4, v[31:32]
	v_or_b32_e32 v32, 0x200, v0
	v_mul_u32_u24_sdwa v33, v32, s5 dst_sel:DWORD dst_unused:UNUSED_PAD src0_sel:WORD_0 src1_sel:DWORD
	v_lshrrev_b32_e32 v73, 17, v33
	v_mul_lo_u16_e32 v33, 0x70, v73
	v_sub_u16_e32 v74, v32, v33
	v_mad_u64_u32 v[39:40], s[6:7], s0, v74, 0
	v_mul_lo_u32 v65, s2, v71
	v_mov_b32_e32 v31, s4
	v_add_co_u32_e32 v32, vcc, s3, v29
	v_addc_co_u32_e32 v33, vcc, v31, v30, vcc
	v_mov_b32_e32 v31, v40
	v_mad_u64_u32 v[40:41], s[6:7], s1, v74, v[31:32]
	v_lshlrev_b64 v[29:30], 4, v[65:66]
	v_mul_lo_u32 v65, s2, v73
	v_add_co_u32_e32 v41, vcc, v32, v29
	v_addc_co_u32_e32 v42, vcc, v33, v30, vcc
	global_load_dwordx4 v[29:32], v[37:38], off
	global_load_dwordx4 v[33:36], v[41:42], off
	v_lshlrev_b64 v[37:38], 4, v[39:40]
	v_or_b32_e32 v39, 0x240, v0
	v_mul_u32_u24_sdwa v40, v39, s5 dst_sel:DWORD dst_unused:UNUSED_PAD src0_sel:WORD_0 src1_sel:DWORD
	v_lshrrev_b32_e32 v75, 17, v40
	v_mul_lo_u16_e32 v40, 0x70, v75
	v_sub_u16_e32 v76, v39, v40
	v_mad_u64_u32 v[39:40], s[6:7], s0, v76, 0
	v_mov_b32_e32 v41, s4
	v_add_co_u32_e32 v42, vcc, s3, v37
	v_addc_co_u32_e32 v43, vcc, v41, v38, vcc
	v_mad_u64_u32 v[40:41], s[6:7], s1, v76, v[40:41]
	v_lshlrev_b64 v[37:38], 4, v[65:66]
	v_mul_lo_u32 v65, s2, v75
	v_add_co_u32_e32 v45, vcc, v42, v37
	v_addc_co_u32_e32 v46, vcc, v43, v38, vcc
	v_lshlrev_b64 v[37:38], 4, v[39:40]
	v_or_b32_e32 v39, 0x280, v0
	v_mul_u32_u24_sdwa v40, v39, s5 dst_sel:DWORD dst_unused:UNUSED_PAD src0_sel:WORD_0 src1_sel:DWORD
	v_lshrrev_b32_e32 v77, 17, v40
	v_mul_lo_u16_e32 v40, 0x70, v77
	v_sub_u16_e32 v78, v39, v40
	v_mad_u64_u32 v[39:40], s[6:7], s0, v78, 0
	v_mov_b32_e32 v41, s4
	v_add_co_u32_e32 v42, vcc, s3, v37
	v_addc_co_u32_e32 v43, vcc, v41, v38, vcc
	v_mad_u64_u32 v[40:41], s[6:7], s1, v78, v[40:41]
	v_lshlrev_b64 v[37:38], 4, v[65:66]
	v_mul_lo_u32 v65, s2, v77
	v_add_co_u32_e32 v47, vcc, v42, v37
	v_addc_co_u32_e32 v48, vcc, v43, v38, vcc
	v_lshlrev_b64 v[37:38], 4, v[39:40]
	v_or_b32_e32 v40, 0x2c0, v0
	v_mul_u32_u24_sdwa v41, v40, s5 dst_sel:DWORD dst_unused:UNUSED_PAD src0_sel:WORD_0 src1_sel:DWORD
	v_lshrrev_b32_e32 v79, 17, v41
	v_mul_lo_u16_e32 v41, 0x70, v79
	v_sub_u16_e32 v80, v40, v41
	v_mad_u64_u32 v[49:50], s[6:7], s0, v80, 0
	v_mov_b32_e32 v39, s4
	v_add_co_u32_e32 v40, vcc, s3, v37
	v_addc_co_u32_e32 v41, vcc, v39, v38, vcc
	v_mov_b32_e32 v39, v50
	v_lshlrev_b64 v[37:38], 4, v[65:66]
	v_mad_u64_u32 v[50:51], s[6:7], s1, v80, v[39:40]
	v_add_co_u32_e32 v53, vcc, v40, v37
	v_addc_co_u32_e32 v54, vcc, v41, v38, vcc
	global_load_dwordx4 v[37:40], v[45:46], off
	global_load_dwordx4 v[41:44], v[47:48], off
	v_or_b32_e32 v48, 0x300, v0
	v_lshlrev_b64 v[45:46], 4, v[49:50]
	v_mul_u32_u24_sdwa v49, v48, s5 dst_sel:DWORD dst_unused:UNUSED_PAD src0_sel:WORD_0 src1_sel:DWORD
	v_lshrrev_b32_e32 v81, 17, v49
	v_mul_lo_u16_e32 v49, 0x70, v81
	v_sub_u16_e32 v82, v48, v49
	v_mad_u64_u32 v[55:56], s[6:7], s0, v82, 0
	v_mul_lo_u32 v65, s2, v79
	v_mov_b32_e32 v47, s4
	v_add_co_u32_e32 v48, vcc, s3, v45
	v_addc_co_u32_e32 v49, vcc, v47, v46, vcc
	v_mov_b32_e32 v47, v56
	v_mad_u64_u32 v[56:57], s[6:7], s1, v82, v[47:48]
	v_lshlrev_b64 v[45:46], 4, v[65:66]
	v_mul_lo_u32 v65, s2, v81
	v_add_co_u32_e32 v57, vcc, v48, v45
	v_addc_co_u32_e32 v58, vcc, v49, v46, vcc
	global_load_dwordx4 v[45:48], v[53:54], off
	global_load_dwordx4 v[49:52], v[57:58], off
	v_lshlrev_b64 v[53:54], 4, v[55:56]
	v_or_b32_e32 v55, 0x340, v0
	v_mul_u32_u24_sdwa v56, v55, s5 dst_sel:DWORD dst_unused:UNUSED_PAD src0_sel:WORD_0 src1_sel:DWORD
	v_lshrrev_b32_e32 v83, 17, v56
	v_mul_lo_u16_e32 v56, 0x70, v83
	v_sub_u16_e32 v84, v55, v56
	v_mad_u64_u32 v[55:56], s[6:7], s0, v84, 0
	v_mov_b32_e32 v57, s4
	v_add_co_u32_e32 v58, vcc, s3, v53
	v_addc_co_u32_e32 v59, vcc, v57, v54, vcc
	v_mad_u64_u32 v[56:57], s[0:1], s1, v84, v[56:57]
	v_lshlrev_b64 v[53:54], 4, v[65:66]
	v_mul_lo_u32 v65, s2, v83
	v_add_co_u32_e32 v53, vcc, v58, v53
	v_lshlrev_b64 v[55:56], 4, v[55:56]
	v_addc_co_u32_e32 v54, vcc, v59, v54, vcc
	v_mov_b32_e32 v57, s4
	v_add_co_u32_e32 v59, vcc, s3, v55
	v_addc_co_u32_e32 v60, vcc, v57, v56, vcc
	v_lshlrev_b64 v[57:58], 4, v[65:66]
	global_load_dwordx4 v[53:56], v[53:54], off
	v_add_co_u32_e32 v57, vcc, v59, v57
	v_addc_co_u32_e32 v58, vcc, v60, v58, vcc
	global_load_dwordx4 v[57:60], v[57:58], off
	v_lshlrev_b16_e32 v2, 3, v2
	v_or_b32_e32 v1, v2, v1
	v_and_b32_e32 v1, 0xffff, v1
	v_lshl_add_u32 v65, v0, 7, 0
	v_lshl_add_u32 v1, v1, 4, 0
	s_waitcnt vmcnt(13)
	ds_write_b128 v65, v[5:8]
	s_waitcnt vmcnt(12)
	ds_write_b128 v1, v[9:12]
	v_lshlrev_b16_e32 v1, 3, v4
	v_or_b32_e32 v1, v1, v3
	v_and_b32_e32 v1, 0xffff, v1
	v_lshl_add_u32 v1, v1, 4, 0
	s_waitcnt vmcnt(11)
	ds_write_b128 v1, v[13:16]
	v_lshlrev_b16_e32 v1, 3, v62
	v_or_b32_e32 v1, v1, v61
	v_and_b32_e32 v1, 0xffff, v1
	v_lshl_add_u32 v1, v1, 4, 0
	;; [unrolled: 6-line block ×11, first 2 shown]
	v_and_b32_e32 v68, 7, v0
	v_lshrrev_b32_e32 v67, 3, v0
	v_lshlrev_b32_e32 v25, 4, v68
	s_load_dwordx8 s[0:7], s[14:15], 0x0
	s_mov_b32 s12, 0x36b3c0b5
	s_mov_b32 s22, 0xe976ee23
	;; [unrolled: 1-line block ×9, first 2 shown]
	s_waitcnt vmcnt(1)
	ds_write_b128 v1, v[53:56]
	v_lshlrev_b16_e32 v1, 3, v84
	v_or_b32_e32 v1, v1, v83
	v_and_b32_e32 v1, 0xffff, v1
	v_lshl_add_u32 v1, v1, 4, 0
	s_waitcnt vmcnt(0)
	ds_write_b128 v1, v[57:60]
	v_lshlrev_b32_e32 v1, 7, v67
	v_add3_u32 v29, 0, v1, v25
	s_waitcnt lgkmcnt(0)
	; wave barrier
	s_waitcnt lgkmcnt(0)
	ds_read_b128 v[1:4], v29 offset:12288
	ds_read_b128 v[5:8], v29 offset:2048
	ds_read_b128 v[9:12], v29 offset:3072
	ds_read_b128 v[13:16], v29 offset:13312
	ds_read_b128 v[17:20], v29 offset:10240
	ds_read_b128 v[21:24], v29 offset:4096
	s_waitcnt lgkmcnt(4)
	v_add_f64 v[46:47], v[7:8], v[3:4]
	ds_read_b128 v[30:33], v29 offset:5120
	ds_read_b128 v[34:37], v29 offset:11264
	;; [unrolled: 1-line block ×4, first 2 shown]
	v_add_f64 v[26:27], v[5:6], v[1:2]
	s_waitcnt lgkmcnt(4)
	v_add_f64 v[50:51], v[23:24], v[19:20]
	v_add_f64 v[48:49], v[21:22], v[17:18]
	v_add_f64 v[21:22], v[21:22], -v[17:18]
	s_waitcnt lgkmcnt(0)
	v_add_f64 v[58:59], v[44:45], v[40:41]
	v_add_f64 v[56:57], v[42:43], v[38:39]
	v_add_f64 v[23:24], v[23:24], -v[19:20]
	v_add_f64 v[38:39], v[38:39], -v[42:43]
	;; [unrolled: 1-line block ×3, first 2 shown]
	v_add_f64 v[62:63], v[50:51], v[46:47]
	v_add_f64 v[60:61], v[48:49], v[26:27]
	v_add_f64 v[52:53], v[5:6], -v[1:2]
	v_add_f64 v[54:55], v[7:8], -v[3:4]
	ds_read_b128 v[1:4], v29 offset:7168
	ds_read_b128 v[5:8], v29 offset:9216
	ds_read_b128 v[17:20], v29
	v_add_f64 v[42:43], v[9:10], v[13:14]
	v_add_f64 v[44:45], v[11:12], v[15:16]
	;; [unrolled: 1-line block ×4, first 2 shown]
	v_add_f64 v[64:65], v[9:10], -v[13:14]
	v_add_f64 v[69:70], v[11:12], -v[15:16]
	ds_read_b128 v[9:12], v29 offset:1024
	v_add_f64 v[77:78], v[50:51], -v[46:47]
	v_add_f64 v[50:51], v[58:59], -v[50:51]
	;; [unrolled: 1-line block ×3, first 2 shown]
	s_waitcnt lgkmcnt(1)
	v_add_f64 v[15:16], v[19:20], v[62:63]
	v_add_f64 v[19:20], v[56:57], -v[48:49]
	v_add_f64 v[81:82], v[40:41], -v[23:24]
	v_add_f64 v[13:14], v[17:18], v[60:61]
	v_add_f64 v[17:18], v[48:49], -v[26:27]
	v_add_f64 v[48:49], v[38:39], v[21:22]
	v_add_f64 v[75:76], v[40:41], v[23:24]
	v_add_f64 v[21:22], v[21:22], -v[52:53]
	v_add_f64 v[23:24], v[23:24], -v[54:55]
	v_mul_f64 v[83:84], v[19:20], s[12:13]
	v_mul_f64 v[85:86], v[50:51], s[12:13]
	;; [unrolled: 1-line block ×4, first 2 shown]
	s_mov_b32 s21, 0xbfebfeb5
	v_add_f64 v[48:49], v[48:49], v[52:53]
	v_add_f64 v[75:76], v[75:76], v[54:55]
	v_fma_f64 v[60:61], v[60:61], s[16:17], v[13:14]
	v_fma_f64 v[62:63], v[62:63], s[16:17], v[15:16]
	v_fma_f64 v[83:84], v[17:18], s[24:25], -v[83:84]
	v_fma_f64 v[85:86], v[77:78], s[24:25], -v[85:86]
	;; [unrolled: 1-line block ×4, first 2 shown]
	v_add_f64 v[26:27], v[26:27], -v[56:57]
	s_mov_b32 s14, 0x37c3f68c
	s_mov_b32 s34, 0x37e14327
	;; [unrolled: 1-line block ×4, first 2 shown]
	v_add_f64 v[71:72], v[30:31], v[34:35]
	v_add_f64 v[73:74], v[32:33], v[36:37]
	v_add_f64 v[91:92], v[30:31], -v[34:35]
	v_add_f64 v[93:94], v[32:33], -v[36:37]
	v_add_f64 v[30:31], v[83:84], v[60:61]
	v_add_f64 v[32:33], v[85:86], v[62:63]
	v_fma_f64 v[34:35], v[75:76], s[14:15], v[87:88]
	v_fma_f64 v[36:37], v[48:49], s[14:15], v[89:90]
	v_add_f64 v[46:47], v[46:47], -v[58:59]
	v_mul_f64 v[26:27], v[26:27], s[34:35]
	s_mov_b32 s31, 0xbfe77f67
	s_mov_b32 s30, s24
	v_add_f64 v[83:84], v[1:2], v[5:6]
	v_add_f64 v[85:86], v[3:4], v[7:8]
	v_add_f64 v[87:88], v[5:6], -v[1:2]
	v_add_f64 v[89:90], v[7:8], -v[3:4]
	;; [unrolled: 1-line block ×3, first 2 shown]
	v_add_f64 v[3:4], v[36:37], v[32:33]
	v_add_f64 v[5:6], v[30:31], v[34:35]
	v_add_f64 v[7:8], v[32:33], -v[36:37]
	v_mul_f64 v[30:31], v[46:47], s[34:35]
	v_add_f64 v[32:33], v[52:53], -v[38:39]
	v_add_f64 v[34:35], v[54:55], -v[40:41]
	v_mul_f64 v[23:24], v[23:24], s[20:21]
	v_mul_f64 v[21:22], v[21:22], s[20:21]
	v_fma_f64 v[17:18], v[17:18], s[30:31], -v[26:27]
	s_mov_b32 s26, 0xb247c609
	s_mov_b32 s27, 0xbfd5d0dc
	;; [unrolled: 1-line block ×4, first 2 shown]
	v_fma_f64 v[36:37], v[77:78], s[30:31], -v[30:31]
	v_fma_f64 v[23:24], v[34:35], s[28:29], -v[23:24]
	;; [unrolled: 1-line block ×3, first 2 shown]
	v_fma_f64 v[19:20], v[19:20], s[12:13], v[26:27]
	v_add_f64 v[26:27], v[17:18], v[60:61]
	v_fma_f64 v[17:18], v[50:51], s[12:13], v[30:31]
	v_fma_f64 v[30:31], v[34:35], s[26:27], v[81:82]
	;; [unrolled: 1-line block ×3, first 2 shown]
	v_add_f64 v[36:37], v[36:37], v[62:63]
	v_fma_f64 v[23:24], v[75:76], s[14:15], v[23:24]
	v_fma_f64 v[34:35], v[48:49], s[14:15], v[21:22]
	v_add_f64 v[21:22], v[71:72], v[42:43]
	v_add_f64 v[40:41], v[19:20], v[60:61]
	;; [unrolled: 1-line block ×3, first 2 shown]
	v_fma_f64 v[50:51], v[75:76], s[14:15], v[30:31]
	v_add_f64 v[46:47], v[17:18], v[62:63]
	v_fma_f64 v[48:49], v[48:49], s[14:15], v[32:33]
	v_add_f64 v[17:18], v[26:27], v[23:24]
	v_add_f64 v[19:20], v[36:37], -v[34:35]
	v_add_f64 v[52:53], v[83:84], v[21:22]
	v_add_f64 v[21:22], v[26:27], -v[23:24]
	v_add_f64 v[23:24], v[34:35], v[36:37]
	v_add_f64 v[30:31], v[40:41], v[50:51]
	v_add_f64 v[34:35], v[40:41], -v[50:51]
	v_add_f64 v[26:27], v[71:72], -v[42:43]
	v_add_f64 v[40:41], v[83:84], -v[71:72]
	v_add_f64 v[50:51], v[85:86], -v[73:74]
	v_add_f64 v[42:43], v[42:43], -v[83:84]
	v_add_f64 v[38:39], v[85:86], v[38:39]
	v_add_f64 v[32:33], v[46:47], -v[48:49]
	v_add_f64 v[36:37], v[48:49], v[46:47]
	v_add_f64 v[48:49], v[73:74], -v[44:45]
	;; [unrolled: 2-line block ×3, first 2 shown]
	v_add_f64 v[56:57], v[87:88], -v[91:92]
	v_mul_f64 v[60:61], v[40:41], s[12:13]
	v_add_f64 v[62:63], v[89:90], -v[93:94]
	v_mul_f64 v[42:43], v[42:43], s[34:35]
	;; [unrolled: 2-line block ×3, first 2 shown]
	s_waitcnt lgkmcnt(0)
	v_add_f64 v[11:12], v[11:12], v[38:39]
	v_add_f64 v[46:47], v[87:88], v[91:92]
	v_add_f64 v[58:59], v[91:92], -v[64:65]
	v_add_f64 v[9:10], v[9:10], v[52:53]
	v_add_f64 v[54:55], v[54:55], v[69:70]
	v_add_f64 v[69:70], v[69:70], -v[89:90]
	v_fma_f64 v[60:61], v[26:27], s[24:25], -v[60:61]
	v_mul_f64 v[62:63], v[62:63], s[22:23]
	v_mul_f64 v[44:45], v[44:45], s[34:35]
	v_fma_f64 v[26:27], v[26:27], s[30:31], -v[42:43]
	v_fma_f64 v[40:41], v[40:41], s[12:13], v[42:43]
	v_mul_f64 v[42:43], v[56:57], s[22:23]
	v_fma_f64 v[56:57], v[48:49], s[24:25], -v[73:74]
	v_mul_f64 v[73:74], v[71:72], s[20:21]
	v_add_f64 v[46:47], v[46:47], v[64:65]
	v_add_f64 v[64:65], v[64:65], -v[87:88]
	v_fma_f64 v[75:76], v[38:39], s[16:17], v[11:12]
	v_mul_f64 v[38:39], v[58:59], s[20:21]
	v_fma_f64 v[52:53], v[52:53], s[16:17], v[9:10]
	v_fma_f64 v[71:72], v[71:72], s[20:21], -v[62:63]
	v_fma_f64 v[48:49], v[48:49], s[30:31], -v[44:45]
	;; [unrolled: 1-line block ×3, first 2 shown]
	v_fma_f64 v[44:45], v[50:51], s[12:13], v[44:45]
	v_fma_f64 v[50:51], v[69:70], s[28:29], -v[73:74]
	v_fma_f64 v[62:63], v[69:70], s[26:27], v[62:63]
	v_fma_f64 v[69:70], v[64:65], s[28:29], -v[38:39]
	v_fma_f64 v[42:43], v[64:65], s[26:27], v[42:43]
	v_add_f64 v[56:57], v[56:57], v[75:76]
	v_add_f64 v[26:27], v[26:27], v[52:53]
	v_fma_f64 v[58:59], v[46:47], s[14:15], v[58:59]
	v_add_f64 v[64:65], v[40:41], v[52:53]
	v_fma_f64 v[50:51], v[54:55], s[14:15], v[50:51]
	v_fma_f64 v[62:63], v[54:55], s[14:15], v[62:63]
	v_add_f64 v[60:61], v[60:61], v[52:53]
	v_fma_f64 v[71:72], v[54:55], s[14:15], v[71:72]
	v_add_f64 v[52:53], v[48:49], v[75:76]
	;; [unrolled: 2-line block ×3, first 2 shown]
	v_fma_f64 v[75:76], v[46:47], s[14:15], v[42:43]
	s_movk_i32 s3, 0x300
	v_add_f64 v[40:41], v[58:59], v[56:57]
	v_add_f64 v[44:45], v[56:57], -v[58:59]
	v_add_f64 v[46:47], v[26:27], v[50:51]
	v_add_f64 v[50:51], v[26:27], -v[50:51]
	;; [unrolled: 2-line block ×3, first 2 shown]
	v_mad_u32_u24 v28, v67, s3, v29
	v_mul_lo_u16_e32 v64, 37, v67
	v_mov_b32_e32 v26, 7
	v_add_f64 v[38:39], v[60:61], -v[71:72]
	v_add_f64 v[42:43], v[60:61], v[71:72]
	v_add_f64 v[48:49], v[52:53], -v[69:70]
	v_add_f64 v[52:53], v[69:70], v[52:53]
	;; [unrolled: 2-line block ×3, first 2 shown]
	s_waitcnt lgkmcnt(0)
	; wave barrier
	ds_write_b128 v28, v[13:16]
	ds_write_b128 v28, v[30:33] offset:128
	ds_write_b128 v28, v[17:20] offset:256
	;; [unrolled: 1-line block ×13, first 2 shown]
	v_mul_lo_u16_sdwa v1, v64, v26 dst_sel:DWORD dst_unused:UNUSED_PAD src0_sel:BYTE_1 src1_sel:DWORD
	v_or_b32_e32 v69, 8, v67
	v_sub_u16_e32 v1, v67, v1
	v_mul_lo_u16_e32 v70, 37, v69
	v_and_b32_e32 v65, 0xff, v1
	v_mul_lo_u16_sdwa v1, v70, v26 dst_sel:DWORD dst_unused:UNUSED_PAD src0_sel:BYTE_1 src1_sel:DWORD
	v_sub_u16_e32 v1, v69, v1
	v_lshlrev_b32_e32 v9, 4, v65
	v_and_b32_e32 v71, 0xff, v1
	s_waitcnt lgkmcnt(0)
	; wave barrier
	s_waitcnt lgkmcnt(0)
	v_lshlrev_b32_e32 v10, 4, v71
	global_load_dwordx4 v[1:4], v9, s[8:9]
	global_load_dwordx4 v[5:8], v10, s[8:9]
	v_or_b32_e32 v72, 16, v67
	v_mul_lo_u16_e32 v73, 37, v72
	v_mul_lo_u16_sdwa v9, v73, v26 dst_sel:DWORD dst_unused:UNUSED_PAD src0_sel:BYTE_1 src1_sel:DWORD
	v_or_b32_e32 v75, 24, v67
	v_sub_u16_e32 v9, v72, v9
	v_mul_lo_u16_e32 v76, 37, v75
	v_and_b32_e32 v74, 0xff, v9
	v_mul_lo_u16_sdwa v9, v76, v26 dst_sel:DWORD dst_unused:UNUSED_PAD src0_sel:BYTE_1 src1_sel:DWORD
	v_sub_u16_e32 v9, v75, v9
	v_or_b32_e32 v78, 32, v67
	v_lshlrev_b32_e32 v17, 4, v74
	v_and_b32_e32 v77, 0xff, v9
	v_mul_lo_u16_e32 v79, 37, v78
	v_lshlrev_b32_e32 v18, 4, v77
	global_load_dwordx4 v[9:12], v17, s[8:9]
	global_load_dwordx4 v[13:16], v18, s[8:9]
	v_mul_lo_u16_sdwa v17, v79, v26 dst_sel:DWORD dst_unused:UNUSED_PAD src0_sel:BYTE_1 src1_sel:DWORD
	v_or_b32_e32 v81, 40, v67
	v_or_b32_e32 v84, 48, v67
	v_sub_u16_e32 v17, v78, v17
	v_mul_lo_u16_e32 v82, 37, v81
	v_mul_lo_u16_e32 v85, 37, v84
	v_and_b32_e32 v80, 0xff, v17
	v_mul_lo_u16_sdwa v17, v82, v26 dst_sel:DWORD dst_unused:UNUSED_PAD src0_sel:BYTE_1 src1_sel:DWORD
	v_mul_lo_u16_sdwa v26, v85, v26 dst_sel:DWORD dst_unused:UNUSED_PAD src0_sel:BYTE_1 src1_sel:DWORD
	v_sub_u16_e32 v17, v81, v17
	v_sub_u16_e32 v26, v84, v26
	v_and_b32_e32 v83, 0xff, v17
	v_and_b32_e32 v86, 0xff, v26
	v_lshlrev_b32_e32 v27, 4, v80
	v_lshlrev_b32_e32 v30, 4, v83
	;; [unrolled: 1-line block ×3, first 2 shown]
	global_load_dwordx4 v[17:20], v27, s[8:9]
	global_load_dwordx4 v[21:24], v30, s[8:9]
	s_movk_i32 s3, 0x1c00
	global_load_dwordx4 v[30:33], v26, s[8:9]
	ds_read_b128 v[34:37], v29 offset:7168
	ds_read_b128 v[38:41], v29 offset:8192
	ds_read_b128 v[42:45], v29
	ds_read_b128 v[46:49], v29 offset:9216
	ds_read_b128 v[50:53], v29 offset:10240
	;; [unrolled: 1-line block ×3, first 2 shown]
	v_cmp_gt_u32_e32 vcc, 48, v0
	s_waitcnt vmcnt(6) lgkmcnt(5)
	v_mul_f64 v[26:27], v[36:37], v[3:4]
	v_mul_f64 v[3:4], v[34:35], v[3:4]
	s_waitcnt vmcnt(5) lgkmcnt(4)
	v_mul_f64 v[58:59], v[40:41], v[7:8]
	v_mul_f64 v[7:8], v[38:39], v[7:8]
	v_fma_f64 v[26:27], v[34:35], v[1:2], v[26:27]
	v_fma_f64 v[34:35], v[36:37], v[1:2], -v[3:4]
	ds_read_b128 v[1:4], v29 offset:12288
	v_fma_f64 v[36:37], v[38:39], v[5:6], v[58:59]
	v_fma_f64 v[38:39], v[40:41], v[5:6], -v[7:8]
	ds_read_b128 v[5:8], v29 offset:13312
	s_waitcnt vmcnt(4) lgkmcnt(4)
	v_mul_f64 v[60:61], v[48:49], v[11:12]
	v_mul_f64 v[11:12], v[46:47], v[11:12]
	s_waitcnt vmcnt(3) lgkmcnt(3)
	v_mul_f64 v[62:63], v[52:53], v[15:16]
	v_mul_f64 v[15:16], v[50:51], v[15:16]
	v_fma_f64 v[46:47], v[46:47], v[9:10], v[60:61]
	v_fma_f64 v[48:49], v[48:49], v[9:10], -v[11:12]
	v_fma_f64 v[50:51], v[50:51], v[13:14], v[62:63]
	v_fma_f64 v[52:53], v[52:53], v[13:14], -v[15:16]
	v_add_f64 v[9:10], v[42:43], -v[26:27]
	v_add_f64 v[11:12], v[44:45], -v[34:35]
	s_waitcnt vmcnt(2) lgkmcnt(2)
	v_mul_f64 v[13:14], v[56:57], v[19:20]
	v_mul_f64 v[15:16], v[54:55], v[19:20]
	s_waitcnt vmcnt(1) lgkmcnt(1)
	v_mul_f64 v[19:20], v[3:4], v[23:24]
	s_waitcnt vmcnt(0) lgkmcnt(0)
	v_mul_f64 v[40:41], v[7:8], v[32:33]
	v_mul_f64 v[32:33], v[5:6], v[32:33]
	;; [unrolled: 1-line block ×3, first 2 shown]
	v_fma_f64 v[26:27], v[54:55], v[17:18], v[13:14]
	v_fma_f64 v[54:55], v[56:57], v[17:18], -v[15:16]
	v_fma_f64 v[56:57], v[1:2], v[21:22], v[19:20]
	v_fma_f64 v[60:61], v[5:6], v[30:31], v[40:41]
	v_mul_i32_i24_e32 v5, 0xfffffd00, v69
	v_fma_f64 v[62:63], v[7:8], v[30:31], -v[32:33]
	v_add3_u32 v30, v28, s3, v5
	v_mov_b32_e32 v28, 14
	v_mul_u32_u24_sdwa v5, v64, v28 dst_sel:DWORD dst_unused:UNUSED_PAD src0_sel:BYTE_1 src1_sel:DWORD
	v_fma_f64 v[1:2], v[42:43], 2.0, -v[9:10]
	v_add_lshl_u32 v43, v5, v65, 7
	v_lshlrev_b32_e32 v5, 7, v72
	v_lshlrev_b32_e32 v6, 7, v75
	v_add3_u32 v5, 0, v5, v25
	v_add3_u32 v19, 0, v6, v25
	v_lshlrev_b32_e32 v6, 7, v78
	v_add3_u32 v20, 0, v6, v25
	ds_read_b128 v[5:8], v5
	ds_read_b128 v[13:16], v30
	v_lshlrev_b32_e32 v17, 7, v81
	v_add3_u32 v35, 0, v17, v25
	v_lshlrev_b32_e32 v17, 7, v84
	v_fma_f64 v[58:59], v[3:4], v[21:22], -v[23:24]
	v_add3_u32 v40, 0, v17, v25
	s_waitcnt lgkmcnt(0)
	v_add_f64 v[17:18], v[13:14], -v[36:37]
	ds_read_b128 v[21:24], v19
	ds_read_b128 v[31:34], v20
	v_add_f64 v[19:20], v[15:16], -v[38:39]
	v_fma_f64 v[3:4], v[44:45], 2.0, -v[11:12]
	v_add3_u32 v64, 0, v43, v25
	v_add_f64 v[43:44], v[5:6], -v[46:47]
	v_add_f64 v[45:46], v[7:8], -v[48:49]
	ds_read_b128 v[35:38], v35
	ds_read_b128 v[39:42], v40
	v_fma_f64 v[13:14], v[13:14], 2.0, -v[17:18]
	s_waitcnt lgkmcnt(0)
	v_fma_f64 v[15:16], v[15:16], 2.0, -v[19:20]
	; wave barrier
	ds_write_b128 v64, v[1:4]
	ds_write_b128 v64, v[9:12] offset:896
	v_mul_u32_u24_sdwa v1, v70, v28 dst_sel:DWORD dst_unused:UNUSED_PAD src0_sel:BYTE_1 src1_sel:DWORD
	v_add_lshl_u32 v1, v1, v71, 7
	v_add3_u32 v9, 0, v1, v25
	v_fma_f64 v[1:2], v[5:6], 2.0, -v[43:44]
	v_fma_f64 v[3:4], v[7:8], 2.0, -v[45:46]
	v_add_f64 v[5:6], v[21:22], -v[50:51]
	v_add_f64 v[7:8], v[23:24], -v[52:53]
	ds_write_b128 v9, v[13:16]
	ds_write_b128 v9, v[17:20] offset:896
	v_mul_u32_u24_sdwa v9, v73, v28 dst_sel:DWORD dst_unused:UNUSED_PAD src0_sel:BYTE_1 src1_sel:DWORD
	v_add_lshl_u32 v9, v9, v74, 7
	v_add3_u32 v9, 0, v9, v25
	ds_write_b128 v9, v[1:4]
	ds_write_b128 v9, v[43:46] offset:896
	v_mul_u32_u24_sdwa v1, v76, v28 dst_sel:DWORD dst_unused:UNUSED_PAD src0_sel:BYTE_1 src1_sel:DWORD
	v_add_lshl_u32 v1, v1, v77, 7
	v_fma_f64 v[13:14], v[21:22], 2.0, -v[5:6]
	v_fma_f64 v[15:16], v[23:24], 2.0, -v[7:8]
	v_add3_u32 v17, 0, v1, v25
	v_add_f64 v[1:2], v[31:32], -v[26:27]
	v_add_f64 v[3:4], v[33:34], -v[54:55]
	v_add_f64 v[9:10], v[35:36], -v[56:57]
	v_add_f64 v[11:12], v[37:38], -v[58:59]
	v_add_f64 v[21:22], v[39:40], -v[60:61]
	v_add_f64 v[23:24], v[41:42], -v[62:63]
	ds_write_b128 v17, v[13:16]
	ds_write_b128 v17, v[5:8] offset:896
	v_mul_u32_u24_sdwa v26, v79, v28 dst_sel:DWORD dst_unused:UNUSED_PAD src0_sel:BYTE_1 src1_sel:DWORD
	v_fma_f64 v[13:14], v[31:32], 2.0, -v[1:2]
	v_fma_f64 v[15:16], v[33:34], 2.0, -v[3:4]
	v_fma_f64 v[5:6], v[35:36], 2.0, -v[9:10]
	v_fma_f64 v[7:8], v[37:38], 2.0, -v[11:12]
	v_fma_f64 v[17:18], v[39:40], 2.0, -v[21:22]
	v_fma_f64 v[19:20], v[41:42], 2.0, -v[23:24]
	v_add_lshl_u32 v26, v26, v80, 7
	v_add3_u32 v26, 0, v26, v25
	ds_write_b128 v26, v[13:16]
	ds_write_b128 v26, v[1:4] offset:896
	v_mul_u32_u24_sdwa v26, v82, v28 dst_sel:DWORD dst_unused:UNUSED_PAD src0_sel:BYTE_1 src1_sel:DWORD
	v_add_lshl_u32 v26, v26, v83, 7
	v_add3_u32 v26, 0, v26, v25
	ds_write_b128 v26, v[5:8]
	ds_write_b128 v26, v[9:12] offset:896
	v_mul_u32_u24_sdwa v26, v85, v28 dst_sel:DWORD dst_unused:UNUSED_PAD src0_sel:BYTE_1 src1_sel:DWORD
	v_add_lshl_u32 v26, v26, v86, 7
	v_add3_u32 v25, 0, v26, v25
	ds_write_b128 v25, v[17:20]
	ds_write_b128 v25, v[21:24] offset:896
	s_waitcnt lgkmcnt(0)
	; wave barrier
	s_waitcnt lgkmcnt(0)
	ds_read_b128 v[33:36], v29
	ds_read_b128 v[61:64], v29 offset:1792
	ds_read_b128 v[57:60], v29 offset:3584
	;; [unrolled: 1-line block ×7, first 2 shown]
                                        ; implicit-def: $vgpr27_vgpr28
                                        ; implicit-def: $vgpr31_vgpr32
	s_and_saveexec_b64 s[12:13], vcc
	s_cbranch_execz .LBB0_4
; %bb.3:
	ds_read_b128 v[1:4], v29 offset:2816
	ds_read_b128 v[5:8], v29 offset:4608
	;; [unrolled: 1-line block ×6, first 2 shown]
	ds_read_b128 v[13:16], v30
	ds_read_b128 v[29:32], v29 offset:13568
.LBB0_4:
	s_or_b64 exec, exec, s[12:13]
	v_mul_u32_u24_e32 v65, 7, v67
	v_lshlrev_b32_e32 v65, 4, v65
	global_load_dwordx4 v[70:73], v65, s[8:9] offset:112
	global_load_dwordx4 v[74:77], v65, s[8:9] offset:128
	;; [unrolled: 1-line block ×7, first 2 shown]
	s_mul_i32 s13, s5, s10
	s_mul_hi_u32 s15, s4, s10
	s_mul_i32 s12, s4, s10
	s_mov_b32 s4, 0x667f3bcd
	s_mov_b32 s5, 0xbfe6a09e
	s_mul_hi_u32 s21, s6, s33
	s_mul_i32 s10, s6, s33
	s_mul_i32 s6, s1, s11
	s_mul_hi_u32 s22, s0, s11
	s_mul_i32 s20, s7, s33
	s_mov_b32 s7, 0x3fe6a09e
	s_add_i32 s13, s15, s13
	s_add_i32 s15, s22, s6
	s_mov_b32 s6, s4
	v_mad_u64_u32 v[98:99], s[16:17], s0, v68, 0
	v_sub_u32_e32 v0, v0, v0
	v_add_u32_e32 v0, v0, v67
	s_mul_i32 s14, s0, s11
	s_add_i32 s11, s21, s20
	v_mul_lo_u32 v65, v0, s2
	s_lshl_b64 s[12:13], s[12:13], 4
	v_mov_b32_e32 v0, v99
	s_add_u32 s16, s18, s12
	s_waitcnt lgkmcnt(7)
	v_mad_u64_u32 v[99:100], s[0:1], s1, v68, v[0:1]
	s_addc_u32 s17, s19, s13
	s_lshl_b64 s[12:13], s[14:15], 4
	s_add_u32 s12, s16, s12
	s_addc_u32 s13, s17, s13
	s_lshl_b64 s[0:1], s[10:11], 4
	s_add_u32 s0, s0, s12
	v_lshlrev_b64 v[98:99], 4, v[98:99]
	s_addc_u32 s1, s1, s13
	s_mul_i32 s3, s2, 14
	v_lshlrev_b64 v[100:101], 4, v[65:66]
	v_mov_b32_e32 v68, s1
	v_add_co_u32_e64 v0, s[0:1], s0, v98
	v_add_u32_e32 v65, s3, v65
	v_lshlrev_b64 v[102:103], 4, v[65:66]
	v_add_u32_e32 v65, s3, v65
	v_lshlrev_b64 v[104:105], 4, v[65:66]
	v_add_u32_e32 v65, s3, v65
	s_waitcnt vmcnt(6) lgkmcnt(6)
	v_mul_f64 v[106:107], v[63:64], v[72:73]
	v_mul_f64 v[72:73], v[61:62], v[72:73]
	s_waitcnt vmcnt(5) lgkmcnt(5)
	v_mul_f64 v[108:109], v[59:60], v[76:77]
	v_mul_f64 v[76:77], v[57:58], v[76:77]
	;; [unrolled: 3-line block ×7, first 2 shown]
	v_fma_f64 v[61:62], v[61:62], v[70:71], v[106:107]
	v_fma_f64 v[63:64], v[63:64], v[70:71], -v[72:73]
	v_fma_f64 v[57:58], v[57:58], v[74:75], v[108:109]
	v_fma_f64 v[59:60], v[59:60], v[74:75], -v[76:77]
	;; [unrolled: 2-line block ×7, first 2 shown]
	v_add_f64 v[45:46], v[33:34], -v[45:46]
	v_add_f64 v[47:48], v[35:36], -v[47:48]
	;; [unrolled: 1-line block ×8, first 2 shown]
	v_fma_f64 v[70:71], v[33:34], 2.0, -v[45:46]
	v_fma_f64 v[34:35], v[35:36], 2.0, -v[47:48]
	;; [unrolled: 1-line block ×6, first 2 shown]
	v_add_f64 v[72:73], v[45:46], v[51:52]
	v_add_f64 v[74:75], v[47:48], -v[49:50]
	v_fma_f64 v[49:50], v[53:54], 2.0, -v[41:42]
	v_fma_f64 v[51:52], v[55:56], 2.0, -v[43:44]
	v_add_f64 v[53:54], v[37:38], v[43:44]
	v_add_f64 v[55:56], v[39:40], -v[41:42]
	v_add_f64 v[76:77], v[70:71], -v[57:58]
	;; [unrolled: 1-line block ×3, first 2 shown]
	v_fma_f64 v[57:58], v[45:46], 2.0, -v[72:73]
	v_fma_f64 v[59:60], v[47:48], 2.0, -v[74:75]
	v_add_f64 v[44:45], v[61:62], -v[49:50]
	v_add_f64 v[42:43], v[63:64], -v[51:52]
	v_fma_f64 v[46:47], v[37:38], 2.0, -v[53:54]
	v_fma_f64 v[38:39], v[39:40], 2.0, -v[55:56]
	;; [unrolled: 1-line block ×4, first 2 shown]
	v_fma_f64 v[80:81], v[53:54], s[6:7], v[72:73]
	v_fma_f64 v[82:83], v[55:56], s[6:7], v[74:75]
	v_fma_f64 v[34:35], v[61:62], 2.0, -v[44:45]
	v_fma_f64 v[36:37], v[63:64], 2.0, -v[42:43]
	v_fma_f64 v[40:41], v[46:47], s[4:5], v[57:58]
	v_fma_f64 v[48:49], v[38:39], s[4:5], v[59:60]
	v_add_f64 v[42:43], v[76:77], v[42:43]
	v_add_f64 v[44:45], v[78:79], -v[44:45]
	v_addc_co_u32_e64 v33, s[0:1], v68, v99, s[0:1]
	v_add_f64 v[34:35], v[50:51], -v[34:35]
	v_add_f64 v[36:37], v[70:71], -v[36:37]
	v_fma_f64 v[38:39], v[38:39], s[6:7], v[40:41]
	v_fma_f64 v[40:41], v[46:47], s[4:5], v[48:49]
	;; [unrolled: 1-line block ×4, first 2 shown]
	v_add_co_u32_e64 v62, s[0:1], v0, v100
	v_fma_f64 v[50:51], v[50:51], 2.0, -v[34:35]
	v_fma_f64 v[52:53], v[70:71], 2.0, -v[36:37]
	;; [unrolled: 1-line block ×6, first 2 shown]
	v_addc_co_u32_e64 v63, s[0:1], v33, v101, s[0:1]
	v_add_co_u32_e64 v80, s[0:1], v0, v102
	v_fma_f64 v[70:71], v[72:73], 2.0, -v[46:47]
	v_fma_f64 v[72:73], v[74:75], 2.0, -v[48:49]
	v_addc_co_u32_e64 v81, s[0:1], v33, v103, s[0:1]
	global_store_dwordx4 v[62:63], v[50:53], off
	global_store_dwordx4 v[80:81], v[54:57], off
	v_add_co_u32_e64 v50, s[0:1], v0, v104
	v_addc_co_u32_e64 v51, s[0:1], v33, v105, s[0:1]
	global_store_dwordx4 v[50:51], v[58:61], off
	v_lshlrev_b64 v[50:51], 4, v[65:66]
	v_add_u32_e32 v65, s3, v65
	v_add_co_u32_e64 v50, s[0:1], v0, v50
	v_addc_co_u32_e64 v51, s[0:1], v33, v51, s[0:1]
	global_store_dwordx4 v[50:51], v[70:73], off
	v_lshlrev_b64 v[50:51], 4, v[65:66]
	v_add_u32_e32 v65, s3, v65
	v_add_co_u32_e64 v50, s[0:1], v0, v50
	v_addc_co_u32_e64 v51, s[0:1], v33, v51, s[0:1]
	global_store_dwordx4 v[50:51], v[34:37], off
	s_nop 0
	v_lshlrev_b64 v[34:35], 4, v[65:66]
	v_add_u32_e32 v65, s3, v65
	v_add_co_u32_e64 v34, s[0:1], v0, v34
	v_addc_co_u32_e64 v35, s[0:1], v33, v35, s[0:1]
	global_store_dwordx4 v[34:35], v[38:41], off
	v_lshlrev_b64 v[34:35], 4, v[65:66]
	v_add_u32_e32 v65, s3, v65
	v_add_co_u32_e64 v34, s[0:1], v0, v34
	v_addc_co_u32_e64 v35, s[0:1], v33, v35, s[0:1]
	global_store_dwordx4 v[34:35], v[42:45], off
	v_lshlrev_b64 v[34:35], 4, v[65:66]
	v_add_co_u32_e64 v34, s[0:1], v0, v34
	v_addc_co_u32_e64 v35, s[0:1], v33, v35, s[0:1]
	global_store_dwordx4 v[34:35], v[46:49], off
	s_and_saveexec_b64 s[0:1], vcc
	s_cbranch_execz .LBB0_6
; %bb.5:
	v_mul_lo_u16_e32 v34, 19, v69
	v_mov_b32_e32 v35, 14
	v_mul_lo_u16_sdwa v34, v34, v35 dst_sel:DWORD dst_unused:UNUSED_PAD src0_sel:BYTE_1 src1_sel:DWORD
	v_sub_u16_e32 v34, v69, v34
	v_mul_lo_u16_e32 v34, 7, v34
	v_mov_b32_e32 v35, 4
	v_lshlrev_b32_sdwa v62, v35, v34 dst_sel:DWORD dst_unused:UNUSED_PAD src0_sel:DWORD src1_sel:BYTE_0
	global_load_dwordx4 v[34:37], v62, s[8:9] offset:160
	global_load_dwordx4 v[38:41], v62, s[8:9] offset:128
	;; [unrolled: 1-line block ×7, first 2 shown]
	v_mul_lo_u32 v62, v69, s2
	v_or_b32_e32 v64, 64, v67
	v_mul_lo_u32 v64, v64, s2
	v_mov_b32_e32 v63, 0
	v_add_u32_e32 v68, 22, v67
	v_lshlrev_b64 v[66:67], 4, v[62:63]
	v_mul_lo_u32 v62, v68, s2
	v_mov_b32_e32 v65, v63
	v_lshlrev_b64 v[64:65], 4, v[64:65]
	v_add_co_u32_e32 v66, vcc, v0, v66
	v_addc_co_u32_e32 v67, vcc, v33, v67, vcc
	v_add_co_u32_e32 v64, vcc, v0, v64
	v_lshlrev_b64 v[68:69], 4, v[62:63]
	v_add_u32_e32 v62, s3, v62
	v_addc_co_u32_e32 v65, vcc, v33, v65, vcc
	v_lshlrev_b64 v[70:71], 4, v[62:63]
	v_add_u32_e32 v62, s3, v62
	v_add_co_u32_e32 v68, vcc, v0, v68
	v_mad_u64_u32 v[74:75], s[0:1], s2, 28, v[62:63]
	v_addc_co_u32_e32 v69, vcc, v33, v69, vcc
	v_lshlrev_b64 v[72:73], 4, v[62:63]
	v_add_co_u32_e32 v70, vcc, v0, v70
	v_addc_co_u32_e32 v71, vcc, v33, v71, vcc
	v_mov_b32_e32 v75, v63
	v_add_u32_e32 v62, s3, v74
	s_waitcnt vmcnt(6)
	v_mul_f64 v[76:77], v[17:18], v[36:37]
	s_waitcnt vmcnt(5)
	v_mul_f64 v[78:79], v[7:8], v[40:41]
	;; [unrolled: 2-line block ×7, first 2 shown]
	v_mul_f64 v[48:49], v[3:4], v[48:49]
	v_mul_f64 v[52:53], v[23:24], v[52:53]
	;; [unrolled: 1-line block ×7, first 2 shown]
	v_fma_f64 v[19:20], v[19:20], v[34:35], -v[76:77]
	v_fma_f64 v[5:6], v[5:6], v[38:39], v[78:79]
	v_fma_f64 v[25:26], v[25:26], v[42:43], v[80:81]
	v_fma_f64 v[3:4], v[3:4], v[46:47], -v[82:83]
	v_fma_f64 v[23:24], v[23:24], v[50:51], -v[84:85]
	v_fma_f64 v[9:10], v[9:10], v[54:55], v[86:87]
	v_fma_f64 v[29:30], v[29:30], v[58:59], v[88:89]
	;; [unrolled: 1-line block ×4, first 2 shown]
	v_fma_f64 v[11:12], v[11:12], v[54:55], -v[56:57]
	v_fma_f64 v[31:32], v[31:32], v[58:59], -v[60:61]
	;; [unrolled: 1-line block ×4, first 2 shown]
	v_fma_f64 v[17:18], v[17:18], v[34:35], v[36:37]
	v_add_f64 v[19:20], v[15:16], -v[19:20]
	v_add_f64 v[25:26], v[5:6], -v[25:26]
	;; [unrolled: 1-line block ×8, first 2 shown]
	v_fma_f64 v[15:16], v[15:16], 2.0, -v[19:20]
	v_add_f64 v[40:41], v[19:20], -v[25:26]
	v_fma_f64 v[3:4], v[3:4], 2.0, -v[23:24]
	v_add_f64 v[42:43], v[23:24], -v[29:30]
	v_fma_f64 v[1:2], v[1:2], 2.0, -v[21:22]
	v_fma_f64 v[11:12], v[11:12], 2.0, -v[31:32]
	;; [unrolled: 1-line block ×6, first 2 shown]
	v_add_f64 v[44:45], v[21:22], v[31:32]
	v_add_f64 v[46:47], v[17:18], v[27:28]
	v_fma_f64 v[25:26], v[19:20], 2.0, -v[40:41]
	v_fma_f64 v[19:20], v[23:24], 2.0, -v[42:43]
	v_add_f64 v[23:24], v[15:16], -v[7:8]
	v_add_f64 v[27:28], v[3:4], -v[11:12]
	;; [unrolled: 1-line block ×4, first 2 shown]
	v_fma_f64 v[21:22], v[21:22], 2.0, -v[44:45]
	v_fma_f64 v[17:18], v[17:18], 2.0, -v[46:47]
	v_fma_f64 v[7:8], v[42:43], s[6:7], v[40:41]
	v_fma_f64 v[9:10], v[19:20], s[4:5], v[25:26]
	v_fma_f64 v[31:32], v[15:16], 2.0, -v[23:24]
	v_fma_f64 v[15:16], v[3:4], 2.0, -v[27:28]
	;; [unrolled: 1-line block ×4, first 2 shown]
	v_fma_f64 v[52:53], v[44:45], s[6:7], v[46:47]
	v_fma_f64 v[29:30], v[21:22], s[4:5], v[17:18]
	;; [unrolled: 1-line block ×4, first 2 shown]
	v_add_f64 v[7:8], v[23:24], -v[5:6]
	v_add_f64 v[15:16], v[31:32], -v[15:16]
	v_add_f64 v[5:6], v[48:49], v[27:28]
	v_add_f64 v[13:14], v[50:51], -v[1:2]
	v_fma_f64 v[1:2], v[42:43], s[6:7], v[52:53]
	v_fma_f64 v[9:10], v[19:20], s[6:7], v[29:30]
	v_add_co_u32_e32 v34, vcc, v0, v72
	v_fma_f64 v[27:28], v[25:26], 2.0, -v[11:12]
	v_fma_f64 v[31:32], v[31:32], 2.0, -v[15:16]
	;; [unrolled: 1-line block ×6, first 2 shown]
	v_lshlrev_b64 v[36:37], 4, v[74:75]
	v_fma_f64 v[19:20], v[40:41], 2.0, -v[3:4]
	v_fma_f64 v[17:18], v[46:47], 2.0, -v[1:2]
	v_addc_co_u32_e32 v35, vcc, v33, v73, vcc
	v_lshlrev_b64 v[38:39], 4, v[62:63]
	v_add_co_u32_e32 v36, vcc, v0, v36
	v_addc_co_u32_e32 v37, vcc, v33, v37, vcc
	v_add_u32_e32 v62, s3, v62
	v_add_co_u32_e32 v38, vcc, v0, v38
	v_addc_co_u32_e32 v39, vcc, v33, v39, vcc
	global_store_dwordx4 v[66:67], v[29:32], off
	global_store_dwordx4 v[68:69], v[25:28], off
	global_store_dwordx4 v[70:71], v[21:24], off
	global_store_dwordx4 v[34:35], v[17:20], off
	global_store_dwordx4 v[64:65], v[13:16], off
	global_store_dwordx4 v[36:37], v[9:12], off
	global_store_dwordx4 v[38:39], v[5:8], off
	s_nop 0
	v_lshlrev_b64 v[5:6], 4, v[62:63]
	v_add_co_u32_e32 v5, vcc, v0, v5
	v_addc_co_u32_e32 v6, vcc, v33, v6, vcc
	global_store_dwordx4 v[5:6], v[1:4], off
.LBB0_6:
	s_endpgm
	.section	.rodata,"a",@progbits
	.p2align	6, 0x0
	.amdhsa_kernel fft_rtc_back_len112_factors_7_2_8_wgs_64_tpt_8_dim3_dp_op_CI_CI_sbrc_aligned_dirReg
		.amdhsa_group_segment_fixed_size 0
		.amdhsa_private_segment_fixed_size 0
		.amdhsa_kernarg_size 96
		.amdhsa_user_sgpr_count 6
		.amdhsa_user_sgpr_private_segment_buffer 1
		.amdhsa_user_sgpr_dispatch_ptr 0
		.amdhsa_user_sgpr_queue_ptr 0
		.amdhsa_user_sgpr_kernarg_segment_ptr 1
		.amdhsa_user_sgpr_dispatch_id 0
		.amdhsa_user_sgpr_flat_scratch_init 0
		.amdhsa_user_sgpr_private_segment_size 0
		.amdhsa_uses_dynamic_stack 0
		.amdhsa_system_sgpr_private_segment_wavefront_offset 0
		.amdhsa_system_sgpr_workgroup_id_x 1
		.amdhsa_system_sgpr_workgroup_id_y 0
		.amdhsa_system_sgpr_workgroup_id_z 0
		.amdhsa_system_sgpr_workgroup_info 0
		.amdhsa_system_vgpr_workitem_id 0
		.amdhsa_next_free_vgpr 120
		.amdhsa_next_free_sgpr 36
		.amdhsa_reserve_vcc 1
		.amdhsa_reserve_flat_scratch 0
		.amdhsa_float_round_mode_32 0
		.amdhsa_float_round_mode_16_64 0
		.amdhsa_float_denorm_mode_32 3
		.amdhsa_float_denorm_mode_16_64 3
		.amdhsa_dx10_clamp 1
		.amdhsa_ieee_mode 1
		.amdhsa_fp16_overflow 0
		.amdhsa_exception_fp_ieee_invalid_op 0
		.amdhsa_exception_fp_denorm_src 0
		.amdhsa_exception_fp_ieee_div_zero 0
		.amdhsa_exception_fp_ieee_overflow 0
		.amdhsa_exception_fp_ieee_underflow 0
		.amdhsa_exception_fp_ieee_inexact 0
		.amdhsa_exception_int_div_zero 0
	.end_amdhsa_kernel
	.text
.Lfunc_end0:
	.size	fft_rtc_back_len112_factors_7_2_8_wgs_64_tpt_8_dim3_dp_op_CI_CI_sbrc_aligned_dirReg, .Lfunc_end0-fft_rtc_back_len112_factors_7_2_8_wgs_64_tpt_8_dim3_dp_op_CI_CI_sbrc_aligned_dirReg
                                        ; -- End function
	.section	.AMDGPU.csdata,"",@progbits
; Kernel info:
; codeLenInByte = 7672
; NumSgprs: 40
; NumVgprs: 120
; ScratchSize: 0
; MemoryBound: 0
; FloatMode: 240
; IeeeMode: 1
; LDSByteSize: 0 bytes/workgroup (compile time only)
; SGPRBlocks: 4
; VGPRBlocks: 29
; NumSGPRsForWavesPerEU: 40
; NumVGPRsForWavesPerEU: 120
; Occupancy: 2
; WaveLimiterHint : 1
; COMPUTE_PGM_RSRC2:SCRATCH_EN: 0
; COMPUTE_PGM_RSRC2:USER_SGPR: 6
; COMPUTE_PGM_RSRC2:TRAP_HANDLER: 0
; COMPUTE_PGM_RSRC2:TGID_X_EN: 1
; COMPUTE_PGM_RSRC2:TGID_Y_EN: 0
; COMPUTE_PGM_RSRC2:TGID_Z_EN: 0
; COMPUTE_PGM_RSRC2:TIDIG_COMP_CNT: 0
	.type	__hip_cuid_13f18608dfc2b519,@object ; @__hip_cuid_13f18608dfc2b519
	.section	.bss,"aw",@nobits
	.globl	__hip_cuid_13f18608dfc2b519
__hip_cuid_13f18608dfc2b519:
	.byte	0                               ; 0x0
	.size	__hip_cuid_13f18608dfc2b519, 1

	.ident	"AMD clang version 19.0.0git (https://github.com/RadeonOpenCompute/llvm-project roc-6.4.0 25133 c7fe45cf4b819c5991fe208aaa96edf142730f1d)"
	.section	".note.GNU-stack","",@progbits
	.addrsig
	.addrsig_sym __hip_cuid_13f18608dfc2b519
	.amdgpu_metadata
---
amdhsa.kernels:
  - .args:
      - .actual_access:  read_only
        .address_space:  global
        .offset:         0
        .size:           8
        .value_kind:     global_buffer
      - .actual_access:  read_only
        .address_space:  global
        .offset:         8
        .size:           8
        .value_kind:     global_buffer
      - .actual_access:  read_only
        .address_space:  global
        .offset:         16
        .size:           8
        .value_kind:     global_buffer
      - .actual_access:  read_only
        .address_space:  global
        .offset:         24
        .size:           8
        .value_kind:     global_buffer
      - .offset:         32
        .size:           8
        .value_kind:     by_value
      - .actual_access:  read_only
        .address_space:  global
        .offset:         40
        .size:           8
        .value_kind:     global_buffer
      - .actual_access:  read_only
        .address_space:  global
        .offset:         48
        .size:           8
        .value_kind:     global_buffer
      - .offset:         56
        .size:           4
        .value_kind:     by_value
      - .actual_access:  read_only
        .address_space:  global
        .offset:         64
        .size:           8
        .value_kind:     global_buffer
      - .actual_access:  read_only
        .address_space:  global
        .offset:         72
        .size:           8
        .value_kind:     global_buffer
      - .actual_access:  read_only
        .address_space:  global
        .offset:         80
        .size:           8
        .value_kind:     global_buffer
      - .actual_access:  write_only
        .address_space:  global
        .offset:         88
        .size:           8
        .value_kind:     global_buffer
    .group_segment_fixed_size: 0
    .kernarg_segment_align: 8
    .kernarg_segment_size: 96
    .language:       OpenCL C
    .language_version:
      - 2
      - 0
    .max_flat_workgroup_size: 64
    .name:           fft_rtc_back_len112_factors_7_2_8_wgs_64_tpt_8_dim3_dp_op_CI_CI_sbrc_aligned_dirReg
    .private_segment_fixed_size: 0
    .sgpr_count:     40
    .sgpr_spill_count: 0
    .symbol:         fft_rtc_back_len112_factors_7_2_8_wgs_64_tpt_8_dim3_dp_op_CI_CI_sbrc_aligned_dirReg.kd
    .uniform_work_group_size: 1
    .uses_dynamic_stack: false
    .vgpr_count:     120
    .vgpr_spill_count: 0
    .wavefront_size: 64
amdhsa.target:   amdgcn-amd-amdhsa--gfx906
amdhsa.version:
  - 1
  - 2
...

	.end_amdgpu_metadata
